;; amdgpu-corpus repo=ROCm/rocFFT kind=compiled arch=gfx1100 opt=O3
	.text
	.amdgcn_target "amdgcn-amd-amdhsa--gfx1100"
	.amdhsa_code_object_version 6
	.protected	fft_rtc_fwd_len125_factors_5_5_5_wgs_400_tpt_25_half_op_CI_CI_sbcc_twdbase8_3step_dirReg_intrinsicRead ; -- Begin function fft_rtc_fwd_len125_factors_5_5_5_wgs_400_tpt_25_half_op_CI_CI_sbcc_twdbase8_3step_dirReg_intrinsicRead
	.globl	fft_rtc_fwd_len125_factors_5_5_5_wgs_400_tpt_25_half_op_CI_CI_sbcc_twdbase8_3step_dirReg_intrinsicRead
	.p2align	8
	.type	fft_rtc_fwd_len125_factors_5_5_5_wgs_400_tpt_25_half_op_CI_CI_sbcc_twdbase8_3step_dirReg_intrinsicRead,@function
fft_rtc_fwd_len125_factors_5_5_5_wgs_400_tpt_25_half_op_CI_CI_sbcc_twdbase8_3step_dirReg_intrinsicRead: ; @fft_rtc_fwd_len125_factors_5_5_5_wgs_400_tpt_25_half_op_CI_CI_sbcc_twdbase8_3step_dirReg_intrinsicRead
; %bb.0:
	s_clause 0x1
	s_load_b128 s[16:19], s[0:1], 0x18
	s_load_b64 s[26:27], s[0:1], 0x28
	s_mov_b32 s28, s15
	s_mov_b32 s29, 0
	s_mov_b64 s[20:21], 0
	s_waitcnt lgkmcnt(0)
	s_load_b64 s[24:25], s[16:17], 0x8
	s_waitcnt lgkmcnt(0)
	s_add_u32 s2, s24, -1
	s_addc_u32 s3, s25, -1
	s_delay_alu instid0(SALU_CYCLE_1) | instskip(NEXT) | instid1(SALU_CYCLE_1)
	s_lshr_b64 s[2:3], s[2:3], 4
	s_add_u32 s30, s2, 1
	s_addc_u32 s31, s3, 0
	s_delay_alu instid0(SALU_CYCLE_1) | instskip(NEXT) | instid1(VALU_DEP_1)
	v_cmp_lt_u64_e64 s2, s[28:29], s[30:31]
	s_and_b32 vcc_lo, exec_lo, s2
	s_cbranch_vccnz .LBB0_2
; %bb.1:
	v_cvt_f32_u32_e32 v1, s30
	s_sub_i32 s3, 0, s30
	s_mov_b32 s21, s29
	s_delay_alu instid0(VALU_DEP_1) | instskip(SKIP_2) | instid1(VALU_DEP_1)
	v_rcp_iflag_f32_e32 v1, v1
	s_waitcnt_depctr 0xfff
	v_mul_f32_e32 v1, 0x4f7ffffe, v1
	v_cvt_u32_f32_e32 v1, v1
	s_delay_alu instid0(VALU_DEP_1) | instskip(NEXT) | instid1(VALU_DEP_1)
	v_readfirstlane_b32 s2, v1
	s_mul_i32 s3, s3, s2
	s_delay_alu instid0(SALU_CYCLE_1) | instskip(NEXT) | instid1(SALU_CYCLE_1)
	s_mul_hi_u32 s3, s2, s3
	s_add_i32 s2, s2, s3
	s_delay_alu instid0(SALU_CYCLE_1) | instskip(NEXT) | instid1(SALU_CYCLE_1)
	s_mul_hi_u32 s2, s28, s2
	s_mul_i32 s3, s2, s30
	s_add_i32 s4, s2, 1
	s_sub_i32 s3, s28, s3
	s_delay_alu instid0(SALU_CYCLE_1)
	s_sub_i32 s5, s3, s30
	s_cmp_ge_u32 s3, s30
	s_cselect_b32 s2, s4, s2
	s_cselect_b32 s3, s5, s3
	s_add_i32 s4, s2, 1
	s_cmp_ge_u32 s3, s30
	s_cselect_b32 s20, s4, s2
.LBB0_2:
	s_load_b128 s[12:15], s[18:19], 0x0
	s_load_b128 s[4:7], s[26:27], 0x0
	;; [unrolled: 1-line block ×3, first 2 shown]
	s_mul_i32 s2, s20, s31
	s_mul_hi_u32 s3, s20, s30
	s_waitcnt lgkmcnt(0)
	s_mul_i32 s13, s20, s30
	s_add_i32 s3, s3, s2
	s_sub_u32 s34, s28, s13
	s_subb_u32 s35, 0, s3
	s_clause 0x1
	s_load_b64 s[22:23], s[0:1], 0x0
	s_load_b128 s[0:3], s[0:1], 0x60
	v_alignbit_b32 v1, s35, s34, 28
	s_lshl_b64 s[34:35], s[34:35], 4
	s_delay_alu instid0(VALU_DEP_1)
	v_mul_lo_u32 v2, s14, v1
	v_mul_lo_u32 v1, s6, v1
	s_mul_hi_u32 s13, s14, s34
	s_mul_hi_u32 s37, s6, s34
	v_cmp_lt_u64_e64 s39, s[10:11], 3
	s_mul_i32 s33, s15, s34
	s_mul_i32 s36, s14, s34
	;; [unrolled: 1-line block ×3, first 2 shown]
	v_add_nc_u32_e32 v2, s13, v2
	v_add_nc_u32_e32 v4, s37, v1
	s_mul_i32 s13, s6, s34
	s_and_b32 vcc_lo, exec_lo, s39
	v_dual_mov_b32 v1, s13 :: v_dual_mov_b32 v8, s36
	v_add_nc_u32_e32 v3, s33, v2
	v_add_nc_u32_e32 v2, s38, v4
	s_cbranch_vccnz .LBB0_11
; %bb.3:
	s_add_u32 s36, s26, 16
	s_addc_u32 s37, s27, 0
	s_add_u32 s38, s18, 16
	s_addc_u32 s39, s19, 0
	;; [unrolled: 2-line block ×3, first 2 shown]
	s_mov_b64 s[40:41], 2
	s_mov_b32 s42, 0
	s_branch .LBB0_5
.LBB0_4:                                ;   in Loop: Header=BB0_5 Depth=1
	s_load_b64 s[48:49], s[38:39], 0x0
	s_load_b64 s[50:51], s[36:37], 0x0
	s_mul_i32 s13, s44, s31
	s_mul_hi_u32 s31, s44, s30
	s_mul_i32 s33, s45, s30
	s_mul_i32 s43, s46, s45
	s_mul_hi_u32 s45, s46, s44
	s_mul_i32 s52, s47, s44
	s_add_i32 s13, s31, s13
	s_add_i32 s43, s45, s43
	s_mul_i32 s53, s46, s44
	s_add_i32 s31, s13, s33
	s_add_i32 s43, s43, s52
	s_sub_u32 s13, s20, s53
	s_subb_u32 s20, s21, s43
	s_mul_i32 s30, s44, s30
	s_waitcnt lgkmcnt(0)
	s_mul_i32 s21, s48, s20
	s_mul_hi_u32 s33, s48, s13
	s_mul_i32 s20, s50, s20
	s_mul_hi_u32 s45, s50, s13
	s_mul_i32 s43, s49, s13
	s_add_i32 s21, s33, s21
	s_add_i32 s20, s45, s20
	s_mul_i32 s33, s51, s13
	s_mul_i32 s44, s48, s13
	s_add_i32 s21, s21, s43
	s_add_i32 s20, s20, s33
	v_add_co_u32 v8, vcc_lo, s44, v8
	s_add_u32 s40, s40, 1
	s_mul_i32 s13, s50, s13
	s_addc_u32 s41, s41, 0
	v_add_co_ci_u32_e32 v3, vcc_lo, s21, v3, vcc_lo
	v_add_co_u32 v1, vcc_lo, s13, v1
	v_cmp_ge_u64_e64 s13, s[40:41], s[10:11]
	s_add_u32 s36, s36, 8
	s_addc_u32 s37, s37, 0
	v_add_co_ci_u32_e32 v2, vcc_lo, s20, v2, vcc_lo
	s_add_u32 s38, s38, 8
	s_addc_u32 s39, s39, 0
	s_add_u32 s16, s16, 8
	s_addc_u32 s17, s17, 0
	s_and_b32 vcc_lo, exec_lo, s13
	s_mov_b64 s[20:21], s[46:47]
	s_cbranch_vccnz .LBB0_9
.LBB0_5:                                ; =>This Inner Loop Header: Depth=1
	s_load_b64 s[44:45], s[16:17], 0x0
	s_mov_b32 s13, -1
	s_waitcnt lgkmcnt(0)
	s_or_b64 s[46:47], s[20:21], s[44:45]
	s_delay_alu instid0(SALU_CYCLE_1) | instskip(NEXT) | instid1(SALU_CYCLE_1)
	s_mov_b32 s43, s47
                                        ; implicit-def: $sgpr46_sgpr47
	s_cmp_lg_u64 s[42:43], 0
	s_cbranch_scc0 .LBB0_7
; %bb.6:                                ;   in Loop: Header=BB0_5 Depth=1
	v_cvt_f32_u32_e32 v4, s44
	v_cvt_f32_u32_e32 v5, s45
	s_sub_u32 s43, 0, s44
	s_subb_u32 s46, 0, s45
	s_delay_alu instid0(VALU_DEP_1) | instskip(NEXT) | instid1(VALU_DEP_1)
	v_fmac_f32_e32 v4, 0x4f800000, v5
	v_rcp_f32_e32 v4, v4
	s_waitcnt_depctr 0xfff
	v_mul_f32_e32 v4, 0x5f7ffffc, v4
	s_delay_alu instid0(VALU_DEP_1) | instskip(NEXT) | instid1(VALU_DEP_1)
	v_mul_f32_e32 v5, 0x2f800000, v4
	v_trunc_f32_e32 v5, v5
	s_delay_alu instid0(VALU_DEP_1) | instskip(SKIP_1) | instid1(VALU_DEP_2)
	v_fmac_f32_e32 v4, 0xcf800000, v5
	v_cvt_u32_f32_e32 v5, v5
	v_cvt_u32_f32_e32 v4, v4
	s_delay_alu instid0(VALU_DEP_2) | instskip(NEXT) | instid1(VALU_DEP_2)
	v_readfirstlane_b32 s13, v5
	v_readfirstlane_b32 s33, v4
	s_delay_alu instid0(VALU_DEP_2) | instskip(NEXT) | instid1(VALU_DEP_1)
	s_mul_i32 s47, s43, s13
	s_mul_hi_u32 s49, s43, s33
	s_mul_i32 s48, s46, s33
	s_add_i32 s47, s49, s47
	s_mul_i32 s50, s43, s33
	s_add_i32 s47, s47, s48
	s_mul_hi_u32 s49, s33, s50
	s_mul_hi_u32 s51, s13, s50
	s_mul_i32 s48, s13, s50
	s_mul_hi_u32 s50, s33, s47
	s_mul_i32 s33, s33, s47
	s_mul_hi_u32 s52, s13, s47
	s_add_u32 s33, s49, s33
	s_addc_u32 s49, 0, s50
	s_add_u32 s33, s33, s48
	s_mul_i32 s47, s13, s47
	s_addc_u32 s33, s49, s51
	s_addc_u32 s48, s52, 0
	s_add_u32 s33, s33, s47
	s_addc_u32 s47, 0, s48
	v_add_co_u32 v4, s33, v4, s33
	s_delay_alu instid0(VALU_DEP_1) | instskip(SKIP_1) | instid1(VALU_DEP_1)
	s_cmp_lg_u32 s33, 0
	s_addc_u32 s13, s13, s47
	v_readfirstlane_b32 s33, v4
	s_mul_i32 s47, s43, s13
	s_delay_alu instid0(VALU_DEP_1)
	s_mul_hi_u32 s48, s43, s33
	s_mul_i32 s46, s46, s33
	s_add_i32 s47, s48, s47
	s_mul_i32 s43, s43, s33
	s_add_i32 s47, s47, s46
	s_mul_hi_u32 s48, s13, s43
	s_mul_i32 s49, s13, s43
	s_mul_hi_u32 s43, s33, s43
	s_mul_hi_u32 s50, s33, s47
	s_mul_i32 s33, s33, s47
	s_mul_hi_u32 s46, s13, s47
	s_add_u32 s33, s43, s33
	s_addc_u32 s43, 0, s50
	s_add_u32 s33, s33, s49
	s_mul_i32 s47, s13, s47
	s_addc_u32 s33, s43, s48
	s_addc_u32 s43, s46, 0
	s_add_u32 s33, s33, s47
	s_addc_u32 s43, 0, s43
	v_add_co_u32 v4, s33, v4, s33
	s_delay_alu instid0(VALU_DEP_1) | instskip(SKIP_1) | instid1(VALU_DEP_1)
	s_cmp_lg_u32 s33, 0
	s_addc_u32 s13, s13, s43
	v_readfirstlane_b32 s33, v4
	s_mul_i32 s46, s20, s13
	s_mul_hi_u32 s43, s20, s13
	s_mul_hi_u32 s47, s21, s13
	s_mul_i32 s13, s21, s13
	s_mul_hi_u32 s48, s20, s33
	s_mul_hi_u32 s49, s21, s33
	s_mul_i32 s33, s21, s33
	s_add_u32 s46, s48, s46
	s_addc_u32 s43, 0, s43
	s_add_u32 s33, s46, s33
	s_addc_u32 s33, s43, s49
	s_addc_u32 s43, s47, 0
	s_add_u32 s33, s33, s13
	s_addc_u32 s43, 0, s43
	s_mul_hi_u32 s13, s44, s33
	s_mul_i32 s47, s44, s43
	s_mul_i32 s48, s44, s33
	s_add_i32 s13, s13, s47
	v_sub_co_u32 v4, s47, s20, s48
	s_mul_i32 s46, s45, s33
	s_delay_alu instid0(SALU_CYCLE_1) | instskip(NEXT) | instid1(VALU_DEP_1)
	s_add_i32 s13, s13, s46
	v_sub_co_u32 v5, s48, v4, s44
	s_sub_i32 s46, s21, s13
	s_cmp_lg_u32 s47, 0
	s_subb_u32 s46, s46, s45
	s_cmp_lg_u32 s48, 0
	v_readfirstlane_b32 s48, v5
	s_subb_u32 s46, s46, 0
	s_delay_alu instid0(SALU_CYCLE_1) | instskip(SKIP_1) | instid1(VALU_DEP_1)
	s_cmp_ge_u32 s46, s45
	s_cselect_b32 s49, -1, 0
	s_cmp_ge_u32 s48, s44
	s_cselect_b32 s48, -1, 0
	s_cmp_eq_u32 s46, s45
	s_cselect_b32 s46, s48, s49
	s_add_u32 s48, s33, 1
	s_addc_u32 s49, s43, 0
	s_add_u32 s50, s33, 2
	s_addc_u32 s51, s43, 0
	s_cmp_lg_u32 s46, 0
	s_cselect_b32 s46, s50, s48
	s_cselect_b32 s48, s51, s49
	s_cmp_lg_u32 s47, 0
	v_readfirstlane_b32 s47, v4
	s_subb_u32 s13, s21, s13
	s_delay_alu instid0(SALU_CYCLE_1) | instskip(SKIP_1) | instid1(VALU_DEP_1)
	s_cmp_ge_u32 s13, s45
	s_cselect_b32 s49, -1, 0
	s_cmp_ge_u32 s47, s44
	s_cselect_b32 s47, -1, 0
	s_cmp_eq_u32 s13, s45
	s_cselect_b32 s13, s47, s49
	s_delay_alu instid0(SALU_CYCLE_1)
	s_cmp_lg_u32 s13, 0
	s_mov_b32 s13, 0
	s_cselect_b32 s47, s48, s43
	s_cselect_b32 s46, s46, s33
.LBB0_7:                                ;   in Loop: Header=BB0_5 Depth=1
	s_and_not1_b32 vcc_lo, exec_lo, s13
	s_cbranch_vccnz .LBB0_4
; %bb.8:                                ;   in Loop: Header=BB0_5 Depth=1
	v_cvt_f32_u32_e32 v4, s44
	s_sub_i32 s33, 0, s44
	s_mov_b32 s47, s42
	s_delay_alu instid0(VALU_DEP_1) | instskip(SKIP_2) | instid1(VALU_DEP_1)
	v_rcp_iflag_f32_e32 v4, v4
	s_waitcnt_depctr 0xfff
	v_mul_f32_e32 v4, 0x4f7ffffe, v4
	v_cvt_u32_f32_e32 v4, v4
	s_delay_alu instid0(VALU_DEP_1) | instskip(NEXT) | instid1(VALU_DEP_1)
	v_readfirstlane_b32 s13, v4
	s_mul_i32 s33, s33, s13
	s_delay_alu instid0(SALU_CYCLE_1) | instskip(NEXT) | instid1(SALU_CYCLE_1)
	s_mul_hi_u32 s33, s13, s33
	s_add_i32 s13, s13, s33
	s_delay_alu instid0(SALU_CYCLE_1) | instskip(NEXT) | instid1(SALU_CYCLE_1)
	s_mul_hi_u32 s13, s20, s13
	s_mul_i32 s33, s13, s44
	s_add_i32 s43, s13, 1
	s_sub_i32 s33, s20, s33
	s_delay_alu instid0(SALU_CYCLE_1)
	s_sub_i32 s46, s33, s44
	s_cmp_ge_u32 s33, s44
	s_cselect_b32 s13, s43, s13
	s_cselect_b32 s33, s46, s33
	s_add_i32 s43, s13, 1
	s_cmp_ge_u32 s33, s44
	s_cselect_b32 s46, s43, s13
	s_branch .LBB0_4
.LBB0_9:
	v_cmp_lt_u64_e64 s13, s[28:29], s[30:31]
	s_mov_b64 s[20:21], 0
	s_delay_alu instid0(VALU_DEP_1)
	s_and_b32 vcc_lo, exec_lo, s13
	s_cbranch_vccnz .LBB0_11
; %bb.10:
	v_cvt_f32_u32_e32 v3, s30
	s_sub_i32 s16, 0, s30
	s_delay_alu instid0(VALU_DEP_1) | instskip(SKIP_2) | instid1(VALU_DEP_1)
	v_rcp_iflag_f32_e32 v3, v3
	s_waitcnt_depctr 0xfff
	v_mul_f32_e32 v3, 0x4f7ffffe, v3
	v_cvt_u32_f32_e32 v3, v3
	s_delay_alu instid0(VALU_DEP_1) | instskip(NEXT) | instid1(VALU_DEP_1)
	v_readfirstlane_b32 s13, v3
	s_mul_i32 s16, s16, s13
	s_delay_alu instid0(SALU_CYCLE_1) | instskip(NEXT) | instid1(SALU_CYCLE_1)
	s_mul_hi_u32 s16, s13, s16
	s_add_i32 s13, s13, s16
	s_delay_alu instid0(SALU_CYCLE_1) | instskip(NEXT) | instid1(SALU_CYCLE_1)
	s_mul_hi_u32 s13, s28, s13
	s_mul_i32 s16, s13, s30
	s_add_i32 s17, s13, 1
	s_sub_i32 s16, s28, s16
	s_delay_alu instid0(SALU_CYCLE_1)
	s_sub_i32 s20, s16, s30
	s_cmp_ge_u32 s16, s30
	s_cselect_b32 s13, s17, s13
	s_cselect_b32 s16, s20, s16
	s_add_i32 s17, s13, 1
	s_cmp_ge_u32 s16, s30
	s_cselect_b32 s20, s17, s13
.LBB0_11:
	s_lshl_b64 s[10:11], s[10:11], 3
	v_dual_mov_b32 v4, s35 :: v_dual_and_b32 v7, 15, v0
	s_add_u32 s16, s18, s10
	s_addc_u32 s17, s19, s11
	s_add_u32 s10, s26, s10
	s_load_b64 s[16:17], s[16:17], 0x0
	v_mad_u64_u32 v[5:6], null, s14, v7, 0
	v_or_b32_e32 v3, s34, v7
	s_addc_u32 s11, s27, s11
	v_mov_b32_e32 v9, 0
	s_add_u32 s18, s34, 16
	s_addc_u32 s19, s35, 0
	v_cmp_gt_u64_e32 vcc_lo, s[24:25], v[3:4]
	s_delay_alu instid0(VALU_DEP_4) | instskip(SKIP_3) | instid1(VALU_DEP_4)
	v_mov_b32_e32 v10, v6
	v_cmp_le_u64_e64 s13, s[18:19], s[24:25]
	v_lshrrev_b32_e32 v6, 4, v0
	v_mov_b32_e32 v4, 0
	v_mad_u64_u32 v[11:12], null, s15, v7, v[10:11]
	s_delay_alu instid0(VALU_DEP_4) | instskip(SKIP_2) | instid1(SALU_CYCLE_1)
	s_or_b32 s13, s13, vcc_lo
	s_waitcnt lgkmcnt(0)
	s_mul_i32 s14, s16, s20
	v_add_co_u32 v11, null, s14, v8
	s_and_saveexec_b32 s14, s13
	s_cbranch_execz .LBB0_13
; %bb.12:
	v_mul_lo_u32 v4, s12, v6
	v_mov_b32_e32 v13, 0
	s_delay_alu instid0(VALU_DEP_2) | instskip(NEXT) | instid1(VALU_DEP_1)
	v_add3_u32 v12, v11, v5, v4
	v_lshlrev_b64 v[12:13], 2, v[12:13]
	s_delay_alu instid0(VALU_DEP_1) | instskip(NEXT) | instid1(VALU_DEP_2)
	v_add_co_u32 v12, vcc_lo, s0, v12
	v_add_co_ci_u32_e32 v13, vcc_lo, s1, v13, vcc_lo
	global_load_b32 v4, v[12:13], off
.LBB0_13:
	s_or_b32 exec_lo, exec_lo, s14
	s_and_saveexec_b32 s14, s13
	s_cbranch_execz .LBB0_15
; %bb.14:
	v_dual_mov_b32 v9, 0 :: v_dual_add_nc_u32 v8, 25, v6
	s_delay_alu instid0(VALU_DEP_1) | instskip(NEXT) | instid1(VALU_DEP_1)
	v_mul_lo_u32 v8, s12, v8
	v_add3_u32 v8, v11, v5, v8
	s_delay_alu instid0(VALU_DEP_1) | instskip(NEXT) | instid1(VALU_DEP_1)
	v_lshlrev_b64 v[8:9], 2, v[8:9]
	v_add_co_u32 v8, vcc_lo, s0, v8
	s_delay_alu instid0(VALU_DEP_2)
	v_add_co_ci_u32_e32 v9, vcc_lo, s1, v9, vcc_lo
	global_load_b32 v9, v[8:9], off
.LBB0_15:
	s_or_b32 exec_lo, exec_lo, s14
	v_mov_b32_e32 v8, 0
	v_mov_b32_e32 v10, 0
	s_and_saveexec_b32 s14, s13
	s_cbranch_execnz .LBB0_22
; %bb.16:
	s_or_b32 exec_lo, exec_lo, s14
	s_and_saveexec_b32 s14, s13
	s_cbranch_execnz .LBB0_23
.LBB0_17:
	s_or_b32 exec_lo, exec_lo, s14
	v_mov_b32_e32 v12, 0
	s_and_saveexec_b32 s14, s13
	s_cbranch_execz .LBB0_19
.LBB0_18:
	v_add_nc_u32_e32 v12, 0x64, v6
	s_delay_alu instid0(VALU_DEP_1) | instskip(SKIP_1) | instid1(VALU_DEP_2)
	v_mul_lo_u32 v13, s12, v12
	v_mov_b32_e32 v12, 0
	v_add3_u32 v11, v11, v5, v13
	s_delay_alu instid0(VALU_DEP_1) | instskip(NEXT) | instid1(VALU_DEP_1)
	v_lshlrev_b64 v[11:12], 2, v[11:12]
	v_add_co_u32 v11, vcc_lo, s0, v11
	s_delay_alu instid0(VALU_DEP_2)
	v_add_co_ci_u32_e32 v12, vcc_lo, s1, v12, vcc_lo
	global_load_b32 v12, v[11:12], off
.LBB0_19:
	s_or_b32 exec_lo, exec_lo, s14
	s_waitcnt vmcnt(0)
	v_pk_add_f16 v5, v4, v9
	v_pk_add_f16 v15, v10, v8
	v_pk_add_f16 v16, v9, v12 neg_lo:[0,1] neg_hi:[0,1]
	v_mul_u32_u24_e32 v11, 0x140, v6
	v_lshlrev_b32_e32 v13, 2, v7
	v_pk_add_f16 v5, v5, v10
	v_pk_add_f16 v14, v10, v8 neg_lo:[0,1] neg_hi:[0,1]
	v_pk_fma_f16 v15, v15, 0.5, v4 op_sel_hi:[1,0,1] neg_lo:[1,0,0] neg_hi:[1,0,0]
	v_pk_mul_f16 v19, 0x3b9c, v16 op_sel_hi:[0,1]
	v_pk_add_f16 v20, v9, v12
	v_pk_add_f16 v5, v5, v8
	v_add3_u32 v21, 0, v11, v13
	v_pk_mul_f16 v11, 0x38b4, v14 op_sel_hi:[0,1]
	v_pk_add_f16 v23, v15, v19 op_sel:[0,1] op_sel_hi:[1,0]
	v_pk_add_f16 v15, v15, v19 op_sel:[0,1] op_sel_hi:[1,0] neg_lo:[0,1] neg_hi:[0,1]
	v_pk_add_f16 v22, v5, v12
	v_and_b32_e32 v5, 0xff, v6
	v_pk_fma_f16 v4, v20, 0.5, v4 op_sel_hi:[1,0,1] neg_lo:[1,0,0] neg_hi:[1,0,0]
	v_pk_mul_f16 v14, 0x3b9c, v14 op_sel_hi:[0,1]
	v_pk_add_f16 v19, v23, v11 op_sel:[0,1] op_sel_hi:[1,0]
	v_pk_add_f16 v11, v15, v11 op_sel:[0,1] op_sel_hi:[1,0] neg_lo:[0,1] neg_hi:[0,1]
	v_mul_lo_u16 v15, 0xcd, v5
	v_pk_mul_f16 v16, 0x38b4, v16 op_sel_hi:[0,1]
	v_pk_add_f16 v20, v4, v14 op_sel:[0,1] op_sel_hi:[1,0] neg_lo:[0,1] neg_hi:[0,1]
	v_pk_add_f16 v4, v4, v14 op_sel:[0,1] op_sel_hi:[1,0]
	v_pk_add_f16 v17, v9, v10 neg_lo:[0,1] neg_hi:[0,1]
	v_lshrrev_b16 v14, 10, v15
	v_pk_add_f16 v18, v12, v8 neg_lo:[0,1] neg_hi:[0,1]
	v_pk_add_f16 v9, v10, v9 neg_lo:[0,1] neg_hi:[0,1]
	;; [unrolled: 1-line block ×3, first 2 shown]
	v_pk_add_f16 v10, v20, v16 op_sel:[0,1] op_sel_hi:[1,0]
	v_pk_add_f16 v4, v4, v16 op_sel:[0,1] op_sel_hi:[1,0] neg_lo:[0,1] neg_hi:[0,1]
	v_mul_lo_u16 v15, v14, 5
	v_pk_add_f16 v12, v17, v18
	v_bfi_b32 v16, 0xffff, v19, v11
	v_pk_add_f16 v8, v9, v8
	v_bfi_b32 v9, 0xffff, v10, v4
	v_bfi_b32 v4, 0xffff, v4, v10
	v_sub_nc_u16 v10, v6, v15
	v_bfi_b32 v11, 0xffff, v11, v19
	v_pk_fma_f16 v15, 0x34f2, v12, v16 op_sel_hi:[0,1,1]
	v_pk_fma_f16 v9, 0x34f2, v8, v9 op_sel_hi:[0,1,1]
	;; [unrolled: 1-line block ×3, first 2 shown]
	v_and_b32_e32 v16, 0xff, v10
	v_pk_fma_f16 v8, 0x34f2, v12, v11 op_sel_hi:[0,1,1]
	s_load_b64 s[0:1], s[10:11], 0x0
	ds_store_2addr_b32 v21, v22, v15 offset1:16
	ds_store_2addr_b32 v21, v9, v4 offset0:32 offset1:48
	v_and_b32_e32 v14, 0xffff, v14
	v_lshlrev_b32_e32 v4, 4, v16
	ds_store_b32 v21, v8 offset:256
	s_waitcnt lgkmcnt(0)
	s_barrier
	buffer_gl0_inv
	global_load_b128 v[8:11], v4, s[22:23]
	v_lshlrev_b32_e32 v4, 8, v6
	v_mul_u32_u24_e32 v14, 25, v14
	s_delay_alu instid0(VALU_DEP_2)
	v_sub_nc_u32_e32 v4, v21, v4
	ds_load_b32 v12, v4 offset:1600
	ds_load_b32 v15, v4 offset:3200
	;; [unrolled: 1-line block ×4, first 2 shown]
	v_add_lshl_u32 v14, v14, v16, 6
	ds_load_b32 v16, v4
	ds_load_u16 v19, v4 offset:2
	s_waitcnt vmcnt(0) lgkmcnt(0)
	s_barrier
	buffer_gl0_inv
	v_add3_u32 v13, 0, v14, v13
	v_lshrrev_b32_e32 v14, 16, v12
	v_lshrrev_b32_e32 v20, 16, v15
	;; [unrolled: 1-line block ×8, first 2 shown]
	s_delay_alu instid0(VALU_DEP_4)
	v_mul_f16_e32 v27, v22, v14
	v_mul_f16_e32 v22, v22, v12
	;; [unrolled: 1-line block ×8, first 2 shown]
	v_fma_f16 v12, v8, v12, -v27
	v_fmac_f16_e32 v22, v8, v14
	v_fma_f16 v8, v9, v15, -v28
	v_fmac_f16_e32 v24, v9, v20
	;; [unrolled: 2-line block ×4, first 2 shown]
	v_add_f16_e32 v11, v12, v16
	v_add_f16_e32 v14, v8, v9
	v_sub_f16_e32 v18, v12, v8
	v_sub_f16_e32 v20, v10, v9
	v_add_f16_e32 v21, v12, v10
	v_add_f16_e32 v28, v19, v22
	;; [unrolled: 1-line block ×4, first 2 shown]
	v_sub_f16_e32 v15, v22, v26
	v_sub_f16_e32 v23, v8, v12
	;; [unrolled: 1-line block ×4, first 2 shown]
	v_add_f16_e32 v8, v11, v8
	v_fma_f16 v11, -0.5, v14, v16
	v_add_f16_e32 v14, v18, v20
	v_fmac_f16_e32 v16, -0.5, v21
	v_add_f16_e32 v20, v28, v24
	v_fma_f16 v21, -0.5, v29, v19
	v_sub_f16_e32 v17, v24, v25
	v_sub_f16_e32 v27, v9, v10
	v_fmac_f16_e32 v19, -0.5, v33
	v_sub_f16_e32 v31, v22, v24
	v_sub_f16_e32 v32, v26, v25
	;; [unrolled: 1-line block ×3, first 2 shown]
	v_add_f16_e32 v8, v8, v9
	v_fmamk_f16 v9, v15, 0x3b9c, v11
	v_add_f16_e32 v20, v20, v25
	v_fmamk_f16 v25, v12, 0xbb9c, v21
	v_sub_f16_e32 v22, v24, v22
	v_add_f16_e32 v18, v23, v27
	v_fmamk_f16 v24, v17, 0xbb9c, v16
	v_fmac_f16_e32 v16, 0x3b9c, v17
	v_fmamk_f16 v27, v30, 0x3b9c, v19
	v_fmac_f16_e32 v19, 0xbb9c, v30
	v_fmac_f16_e32 v11, 0xbb9c, v15
	;; [unrolled: 1-line block ×3, first 2 shown]
	v_add_f16_e32 v23, v31, v32
	v_fmac_f16_e32 v9, 0x38b4, v17
	v_fmac_f16_e32 v25, 0xb8b4, v30
	v_add_f16_e32 v22, v22, v34
	v_fmac_f16_e32 v24, 0x38b4, v15
	v_fmac_f16_e32 v16, 0xb8b4, v15
	v_fmac_f16_e32 v27, 0xb8b4, v12
	v_fmac_f16_e32 v19, 0x38b4, v12
	v_fmac_f16_e32 v11, 0xb8b4, v17
	v_fmac_f16_e32 v21, 0x38b4, v30
	v_add_f16_e32 v8, v8, v10
	v_add_f16_e32 v10, v20, v26
	v_fmac_f16_e32 v9, 0x34f2, v14
	v_fmac_f16_e32 v25, 0x34f2, v23
	;; [unrolled: 1-line block ×8, first 2 shown]
	v_pack_b32_f16 v8, v8, v10
	v_pack_b32_f16 v9, v9, v25
	;; [unrolled: 1-line block ×5, first 2 shown]
	ds_store_2addr_b32 v13, v8, v9 offset1:80
	ds_store_2addr_b32 v13, v10, v12 offset0:160 offset1:240
	ds_store_b32 v13, v11 offset:1280
	s_waitcnt lgkmcnt(0)
	s_barrier
	buffer_gl0_inv
	s_and_saveexec_b32 s10, s13
	s_cbranch_execz .LBB0_21
; %bb.20:
	v_mul_lo_u16 v5, v5, 41
	v_lshrrev_b16 v0, 4, v0
	s_mul_i32 s1, s1, s20
	s_delay_alu instid0(VALU_DEP_2) | instskip(NEXT) | instid1(VALU_DEP_2)
	v_lshrrev_b16 v5, 10, v5
	v_and_b32_e32 v0, 0xffff, v0
	s_delay_alu instid0(VALU_DEP_2) | instskip(NEXT) | instid1(VALU_DEP_2)
	v_mul_lo_u16 v5, v5, 25
	v_mul_u32_u24_e32 v0, 0xa3e, v0
	s_delay_alu instid0(VALU_DEP_2) | instskip(NEXT) | instid1(VALU_DEP_1)
	v_sub_nc_u16 v5, v6, v5
	v_and_b32_e32 v12, 0xff, v5
	s_delay_alu instid0(VALU_DEP_1)
	v_lshlrev_b32_e32 v5, 4, v12
	v_add_nc_u32_e32 v6, 0x4b, v12
	v_add_nc_u32_e32 v14, 50, v12
	;; [unrolled: 1-line block ×3, first 2 shown]
	v_mul_lo_u32 v13, v3, v12
	global_load_b128 v[8:11], v5, s[22:23] offset:80
	v_add_nc_u32_e32 v5, 0x64, v12
	v_mul_lo_u32 v6, v3, v6
	v_mul_lo_u32 v14, v3, v14
	s_delay_alu instid0(VALU_DEP_3)
	v_mul_lo_u32 v5, v3, v5
	v_mul_lo_u32 v3, v3, v15
	v_lshrrev_b32_e32 v15, 14, v13
	v_and_b32_e32 v16, 0xff, v13
	v_lshrrev_b32_e32 v19, 14, v6
	v_and_b32_e32 v20, 0xff, v6
	v_and_b32_e32 v22, 0xff, v14
	v_lshrrev_b32_e32 v13, 6, v13
	v_lshrrev_b32_e32 v17, 14, v5
	v_and_b32_e32 v18, 0xff, v5
	v_lshrrev_b32_e32 v5, 6, v5
	v_lshrrev_b32_e32 v23, 14, v3
	;; [unrolled: 3-line block ×3, first 2 shown]
	v_lshrrev_b32_e32 v14, 6, v14
	v_lshrrev_b32_e32 v3, 6, v3
	v_and_b32_e32 v17, 0x3fc, v17
	v_lshlrev_b32_e32 v18, 2, v18
	v_and_b32_e32 v5, 0x3fc, v5
	v_and_b32_e32 v19, 0x3fc, v19
	v_lshlrev_b32_e32 v20, 2, v20
	v_lshlrev_b32_e32 v22, 2, v22
	v_and_b32_e32 v23, 0x3fc, v23
	v_lshlrev_b32_e32 v24, 2, v24
	v_and_b32_e32 v15, 0x3fc, v15
	;; [unrolled: 2-line block ×3, first 2 shown]
	v_and_b32_e32 v6, 0x3fc, v6
	v_and_b32_e32 v21, 0x3fc, v21
	;; [unrolled: 1-line block ×4, first 2 shown]
	s_clause 0xe
	global_load_b32 v25, v17, s[8:9] offset:2048
	global_load_b32 v26, v18, s[8:9]
	global_load_b32 v27, v5, s[8:9] offset:1024
	global_load_b32 v28, v19, s[8:9] offset:2048
	global_load_b32 v29, v20, s[8:9]
	global_load_b32 v30, v6, s[8:9] offset:1024
	;; [unrolled: 3-line block ×5, first 2 shown]
	v_mad_u64_u32 v[5:6], null, s6, v7, 0
	v_lshrrev_b32_e32 v3, 16, v0
	v_lshlrev_b64 v[0:1], 2, v[1:2]
	ds_load_b32 v37, v4 offset:1600
	ds_load_b32 v38, v4 offset:3200
	;; [unrolled: 1-line block ×4, first 2 shown]
	ds_load_b32 v41, v4
	ds_load_u16 v42, v4 offset:2
	s_mul_hi_u32 s8, s0, s20
	s_mul_i32 s0, s0, s20
	v_mov_b32_e32 v2, v6
	v_mul_lo_u16 v6, 0x7d, v3
	s_add_i32 s1, s8, s1
	s_delay_alu instid0(SALU_CYCLE_1) | instskip(NEXT) | instid1(VALU_DEP_2)
	s_lshl_b64 s[0:1], s[0:1], 2
	v_mad_u64_u32 v[3:4], null, s7, v7, v[2:3]
	s_delay_alu instid0(VALU_DEP_2) | instskip(SKIP_3) | instid1(VALU_DEP_2)
	v_and_b32_e32 v2, 0xffff, v6
	s_add_u32 s0, s2, s0
	s_addc_u32 s1, s3, s1
	v_add_co_u32 v43, vcc_lo, s0, v0
	v_add_nc_u32_e32 v18, v2, v12
	v_add_co_ci_u32_e32 v44, vcc_lo, s1, v1, vcc_lo
	v_mov_b32_e32 v6, v3
	s_waitcnt lgkmcnt(5)
	v_lshrrev_b32_e32 v45, 16, v37
	v_add_nc_u32_e32 v19, 25, v18
	v_add_nc_u32_e32 v20, 50, v18
	v_mad_u64_u32 v[0:1], null, s4, v18, 0
	v_add_nc_u32_e32 v48, 0x64, v18
	s_delay_alu instid0(VALU_DEP_4) | instskip(SKIP_2) | instid1(VALU_DEP_4)
	v_mad_u64_u32 v[2:3], null, s4, v19, 0
	v_add_nc_u32_e32 v21, 0x4b, v18
	v_mad_u64_u32 v[12:13], null, s4, v20, 0
	v_mad_u64_u32 v[16:17], null, s4, v48, 0
	s_delay_alu instid0(VALU_DEP_3)
	v_mad_u64_u32 v[14:15], null, s4, v21, 0
	v_lshlrev_b64 v[4:5], 2, v[5:6]
	v_mad_u64_u32 v[6:7], null, s5, v18, v[1:2]
	v_mov_b32_e32 v1, v3
	v_mov_b32_e32 v3, v13
	v_mov_b32_e32 v13, v17
	v_mov_b32_e32 v7, v15
	s_waitcnt lgkmcnt(4)
	v_lshrrev_b32_e32 v46, 16, v38
	v_mad_u64_u32 v[17:18], null, s5, v19, v[1:2]
	v_mad_u64_u32 v[18:19], null, s5, v20, v[3:4]
	v_mov_b32_e32 v1, v6
	s_waitcnt lgkmcnt(3)
	v_lshrrev_b32_e32 v47, 16, v39
	s_waitcnt lgkmcnt(2)
	v_lshrrev_b32_e32 v49, 16, v40
	v_mov_b32_e32 v3, v17
	v_lshlrev_b64 v[0:1], 2, v[0:1]
	s_delay_alu instid0(VALU_DEP_2)
	v_lshlrev_b64 v[2:3], 2, v[2:3]
	s_waitcnt vmcnt(15)
	v_mad_u64_u32 v[19:20], null, s5, v21, v[7:8]
	v_mad_u64_u32 v[20:21], null, s5, v48, v[13:14]
	v_add_co_u32 v21, vcc_lo, v43, v4
	v_mov_b32_e32 v13, v18
	v_add_co_ci_u32_e32 v43, vcc_lo, v44, v5, vcc_lo
	v_mov_b32_e32 v15, v19
	v_mov_b32_e32 v17, v20
	s_delay_alu instid0(VALU_DEP_4)
	v_lshlrev_b64 v[4:5], 2, v[12:13]
	v_add_co_u32 v0, vcc_lo, v21, v0
	v_add_co_ci_u32_e32 v1, vcc_lo, v43, v1, vcc_lo
	v_lshlrev_b64 v[6:7], 2, v[14:15]
	v_add_co_u32 v2, vcc_lo, v21, v2
	v_add_co_ci_u32_e32 v3, vcc_lo, v43, v3, vcc_lo
	v_lshlrev_b64 v[12:13], 2, v[16:17]
	v_add_co_u32 v4, vcc_lo, v21, v4
	v_lshrrev_b32_e32 v14, 16, v8
	v_lshrrev_b32_e32 v15, 16, v9
	;; [unrolled: 1-line block ×4, first 2 shown]
	v_add_co_ci_u32_e32 v5, vcc_lo, v43, v5, vcc_lo
	v_add_co_u32 v6, vcc_lo, v21, v6
	v_add_co_ci_u32_e32 v7, vcc_lo, v43, v7, vcc_lo
	v_add_co_u32 v12, vcc_lo, v21, v12
	v_mul_f16_e32 v18, v14, v37
	v_mul_f16_e32 v19, v15, v38
	v_mul_f16_e32 v20, v17, v39
	v_mul_f16_e32 v21, v16, v40
	v_mul_f16_e32 v15, v15, v46
	v_mul_f16_e32 v16, v16, v49
	v_mul_f16_e32 v14, v14, v45
	v_mul_f16_e32 v17, v17, v47
	v_fmac_f16_e32 v18, v8, v45
	v_fmac_f16_e32 v19, v9, v46
	;; [unrolled: 1-line block ×4, first 2 shown]
	v_fma_f16 v9, v9, v38, -v15
	v_fma_f16 v10, v10, v40, -v16
	;; [unrolled: 1-line block ×4, first 2 shown]
	v_add_co_ci_u32_e32 v13, vcc_lo, v43, v13, vcc_lo
	v_sub_f16_e32 v14, v18, v19
	v_sub_f16_e32 v15, v20, v21
	v_add_f16_e32 v17, v19, v21
	v_sub_f16_e32 v37, v8, v11
	v_sub_f16_e32 v38, v8, v9
	v_sub_f16_e32 v39, v11, v10
	v_add_f16_e32 v40, v9, v10
	v_sub_f16_e32 v43, v18, v20
	;; [unrolled: 4-line block ×3, first 2 shown]
	v_sub_f16_e32 v49, v10, v11
	v_add_f16_e32 v50, v8, v11
	s_waitcnt lgkmcnt(0)
	v_add_f16_e32 v18, v42, v18
	v_add_f16_e32 v8, v8, v41
	s_waitcnt vmcnt(13)
	v_lshrrev_b32_e32 v52, 16, v26
	s_waitcnt vmcnt(12)
	v_lshrrev_b32_e32 v53, 16, v27
	;; [unrolled: 2-line block ×10, first 2 shown]
	v_sub_f16_e32 v16, v9, v10
	v_sub_f16_e32 v44, v19, v21
	v_add_f16_e32 v14, v14, v15
	v_fma_f16 v15, -0.5, v17, v42
	v_add_f16_e32 v17, v38, v39
	v_fma_f16 v38, -0.5, v40, v41
	;; [unrolled: 2-line block ×4, first 2 shown]
	v_add_f16_e32 v18, v18, v19
	v_add_f16_e32 v8, v8, v9
	v_mul_f16_e32 v9, v52, v53
	v_mul_f16_e32 v19, v26, v53
	;; [unrolled: 1-line block ×6, first 2 shown]
	v_lshrrev_b32_e32 v54, 16, v28
	v_lshrrev_b32_e32 v63, 16, v34
	v_mul_f16_e32 v46, v29, v56
	v_mul_f16_e32 v48, v22, v59
	;; [unrolled: 1-line block ×4, first 2 shown]
	v_fmamk_f16 v65, v16, 0xbb9c, v40
	v_fmamk_f16 v66, v44, 0x3b9c, v41
	v_add_f16_e32 v18, v18, v21
	v_add_f16_e32 v8, v8, v10
	v_fma_f16 v10, v29, v30, -v45
	v_fma_f16 v21, v22, v32, -v47
	v_fma_f16 v22, v24, v33, -v49
	v_fma_f16 v24, v35, v36, -v53
	v_lshrrev_b32_e32 v60, 16, v23
	v_fmamk_f16 v59, v37, 0x3b9c, v15
	v_fmamk_f16 v62, v43, 0xbb9c, v38
	v_fmac_f16_e32 v15, 0xbb9c, v37
	v_fmac_f16_e32 v38, 0x3b9c, v43
	v_lshrrev_b32_e32 v57, 16, v31
	v_fmac_f16_e32 v40, 0x3b9c, v16
	v_fmac_f16_e32 v41, 0xbb9c, v44
	v_lshrrev_b32_e32 v51, 16, v25
	v_fma_f16 v9, v26, v27, -v9
	v_fmac_f16_e32 v19, v52, v27
	v_fmac_f16_e32 v46, v55, v30
	;; [unrolled: 1-line block ×6, first 2 shown]
	v_mul_f16_e32 v26, v10, v54
	v_mul_f16_e32 v35, v24, v63
	v_fmac_f16_e32 v50, v61, v33
	v_fmac_f16_e32 v15, 0xb8b4, v16
	;; [unrolled: 1-line block ×3, first 2 shown]
	v_mul_f16_e32 v32, v22, v60
	v_fmac_f16_e32 v40, 0xb8b4, v37
	v_fmac_f16_e32 v41, 0x38b4, v43
	v_mul_f16_e32 v29, v21, v57
	v_fmac_f16_e32 v59, 0x38b4, v16
	v_fmac_f16_e32 v62, 0xb8b4, v44
	v_add_f16_e32 v16, v18, v20
	v_mul_f16_e32 v18, v9, v51
	v_add_f16_e32 v8, v8, v11
	v_mul_f16_e32 v11, v19, v51
	v_mul_f16_e32 v20, v46, v54
	;; [unrolled: 1-line block ×4, first 2 shown]
	v_fmac_f16_e32 v65, 0x34f2, v39
	v_fmac_f16_e32 v66, 0x34f2, v42
	;; [unrolled: 1-line block ×4, first 2 shown]
	v_mul_f16_e32 v30, v50, v60
	v_fmac_f16_e32 v15, 0x34f2, v14
	v_fmac_f16_e32 v38, 0x34f2, v17
	;; [unrolled: 1-line block ×9, first 2 shown]
	v_fma_f16 v9, v25, v9, -v11
	v_fma_f16 v10, v28, v10, -v20
	;; [unrolled: 1-line block ×4, first 2 shown]
	v_mul_f16_e32 v20, v66, v26
	v_mul_f16_e32 v21, v65, v26
	;; [unrolled: 1-line block ×4, first 2 shown]
	v_fma_f16 v14, v23, v22, -v30
	v_mul_f16_e32 v24, v38, v32
	v_mul_f16_e32 v25, v15, v32
	;; [unrolled: 1-line block ×6, first 2 shown]
	v_fmac_f16_e32 v26, v16, v17
	v_fma_f16 v8, v8, v17, -v27
	v_fmac_f16_e32 v24, v15, v14
	v_fma_f16 v14, v38, v14, -v25
	;; [unrolled: 2-line block ×5, first 2 shown]
	v_pack_b32_f16 v8, v8, v26
	v_pack_b32_f16 v14, v14, v24
	;; [unrolled: 1-line block ×5, first 2 shown]
	s_clause 0x4
	global_store_b32 v[0:1], v8, off
	global_store_b32 v[2:3], v14, off
	;; [unrolled: 1-line block ×5, first 2 shown]
.LBB0_21:
	s_nop 0
	s_sendmsg sendmsg(MSG_DEALLOC_VGPRS)
	s_endpgm
.LBB0_22:
	v_dual_mov_b32 v13, 0 :: v_dual_add_nc_u32 v10, 50, v6
	s_delay_alu instid0(VALU_DEP_1) | instskip(NEXT) | instid1(VALU_DEP_1)
	v_mul_lo_u32 v10, s12, v10
	v_add3_u32 v12, v11, v5, v10
	s_delay_alu instid0(VALU_DEP_1) | instskip(NEXT) | instid1(VALU_DEP_1)
	v_lshlrev_b64 v[12:13], 2, v[12:13]
	v_add_co_u32 v12, vcc_lo, s0, v12
	s_delay_alu instid0(VALU_DEP_2)
	v_add_co_ci_u32_e32 v13, vcc_lo, s1, v13, vcc_lo
	global_load_b32 v10, v[12:13], off
	s_or_b32 exec_lo, exec_lo, s14
	s_and_saveexec_b32 s14, s13
	s_cbranch_execz .LBB0_17
.LBB0_23:
	v_dual_mov_b32 v13, 0 :: v_dual_add_nc_u32 v8, 0x4b, v6
	s_delay_alu instid0(VALU_DEP_1) | instskip(NEXT) | instid1(VALU_DEP_1)
	v_mul_lo_u32 v8, s12, v8
	v_add3_u32 v12, v11, v5, v8
	s_delay_alu instid0(VALU_DEP_1) | instskip(NEXT) | instid1(VALU_DEP_1)
	v_lshlrev_b64 v[12:13], 2, v[12:13]
	v_add_co_u32 v12, vcc_lo, s0, v12
	s_delay_alu instid0(VALU_DEP_2)
	v_add_co_ci_u32_e32 v13, vcc_lo, s1, v13, vcc_lo
	global_load_b32 v8, v[12:13], off
	s_or_b32 exec_lo, exec_lo, s14
	v_mov_b32_e32 v12, 0
	s_and_saveexec_b32 s14, s13
	s_cbranch_execnz .LBB0_18
	s_branch .LBB0_19
	.section	.rodata,"a",@progbits
	.p2align	6, 0x0
	.amdhsa_kernel fft_rtc_fwd_len125_factors_5_5_5_wgs_400_tpt_25_half_op_CI_CI_sbcc_twdbase8_3step_dirReg_intrinsicRead
		.amdhsa_group_segment_fixed_size 0
		.amdhsa_private_segment_fixed_size 0
		.amdhsa_kernarg_size 112
		.amdhsa_user_sgpr_count 15
		.amdhsa_user_sgpr_dispatch_ptr 0
		.amdhsa_user_sgpr_queue_ptr 0
		.amdhsa_user_sgpr_kernarg_segment_ptr 1
		.amdhsa_user_sgpr_dispatch_id 0
		.amdhsa_user_sgpr_private_segment_size 0
		.amdhsa_wavefront_size32 1
		.amdhsa_uses_dynamic_stack 0
		.amdhsa_enable_private_segment 0
		.amdhsa_system_sgpr_workgroup_id_x 1
		.amdhsa_system_sgpr_workgroup_id_y 0
		.amdhsa_system_sgpr_workgroup_id_z 0
		.amdhsa_system_sgpr_workgroup_info 0
		.amdhsa_system_vgpr_workitem_id 0
		.amdhsa_next_free_vgpr 67
		.amdhsa_next_free_sgpr 54
		.amdhsa_reserve_vcc 1
		.amdhsa_float_round_mode_32 0
		.amdhsa_float_round_mode_16_64 0
		.amdhsa_float_denorm_mode_32 3
		.amdhsa_float_denorm_mode_16_64 3
		.amdhsa_dx10_clamp 1
		.amdhsa_ieee_mode 1
		.amdhsa_fp16_overflow 0
		.amdhsa_workgroup_processor_mode 1
		.amdhsa_memory_ordered 1
		.amdhsa_forward_progress 0
		.amdhsa_shared_vgpr_count 0
		.amdhsa_exception_fp_ieee_invalid_op 0
		.amdhsa_exception_fp_denorm_src 0
		.amdhsa_exception_fp_ieee_div_zero 0
		.amdhsa_exception_fp_ieee_overflow 0
		.amdhsa_exception_fp_ieee_underflow 0
		.amdhsa_exception_fp_ieee_inexact 0
		.amdhsa_exception_int_div_zero 0
	.end_amdhsa_kernel
	.text
.Lfunc_end0:
	.size	fft_rtc_fwd_len125_factors_5_5_5_wgs_400_tpt_25_half_op_CI_CI_sbcc_twdbase8_3step_dirReg_intrinsicRead, .Lfunc_end0-fft_rtc_fwd_len125_factors_5_5_5_wgs_400_tpt_25_half_op_CI_CI_sbcc_twdbase8_3step_dirReg_intrinsicRead
                                        ; -- End function
	.section	.AMDGPU.csdata,"",@progbits
; Kernel info:
; codeLenInByte = 4964
; NumSgprs: 56
; NumVgprs: 67
; ScratchSize: 0
; MemoryBound: 0
; FloatMode: 240
; IeeeMode: 1
; LDSByteSize: 0 bytes/workgroup (compile time only)
; SGPRBlocks: 6
; VGPRBlocks: 8
; NumSGPRsForWavesPerEU: 56
; NumVGPRsForWavesPerEU: 67
; Occupancy: 13
; WaveLimiterHint : 1
; COMPUTE_PGM_RSRC2:SCRATCH_EN: 0
; COMPUTE_PGM_RSRC2:USER_SGPR: 15
; COMPUTE_PGM_RSRC2:TRAP_HANDLER: 0
; COMPUTE_PGM_RSRC2:TGID_X_EN: 1
; COMPUTE_PGM_RSRC2:TGID_Y_EN: 0
; COMPUTE_PGM_RSRC2:TGID_Z_EN: 0
; COMPUTE_PGM_RSRC2:TIDIG_COMP_CNT: 0
	.text
	.p2alignl 7, 3214868480
	.fill 96, 4, 3214868480
	.type	__hip_cuid_98f2157e45293759,@object ; @__hip_cuid_98f2157e45293759
	.section	.bss,"aw",@nobits
	.globl	__hip_cuid_98f2157e45293759
__hip_cuid_98f2157e45293759:
	.byte	0                               ; 0x0
	.size	__hip_cuid_98f2157e45293759, 1

	.ident	"AMD clang version 19.0.0git (https://github.com/RadeonOpenCompute/llvm-project roc-6.4.0 25133 c7fe45cf4b819c5991fe208aaa96edf142730f1d)"
	.section	".note.GNU-stack","",@progbits
	.addrsig
	.addrsig_sym __hip_cuid_98f2157e45293759
	.amdgpu_metadata
---
amdhsa.kernels:
  - .args:
      - .actual_access:  read_only
        .address_space:  global
        .offset:         0
        .size:           8
        .value_kind:     global_buffer
      - .address_space:  global
        .offset:         8
        .size:           8
        .value_kind:     global_buffer
      - .offset:         16
        .size:           8
        .value_kind:     by_value
      - .actual_access:  read_only
        .address_space:  global
        .offset:         24
        .size:           8
        .value_kind:     global_buffer
      - .actual_access:  read_only
        .address_space:  global
        .offset:         32
        .size:           8
        .value_kind:     global_buffer
      - .actual_access:  read_only
        .address_space:  global
        .offset:         40
        .size:           8
        .value_kind:     global_buffer
      - .offset:         48
        .size:           8
        .value_kind:     by_value
      - .actual_access:  read_only
        .address_space:  global
        .offset:         56
        .size:           8
        .value_kind:     global_buffer
      - .actual_access:  read_only
        .address_space:  global
        .offset:         64
        .size:           8
        .value_kind:     global_buffer
      - .offset:         72
        .size:           4
        .value_kind:     by_value
      - .actual_access:  read_only
        .address_space:  global
        .offset:         80
        .size:           8
        .value_kind:     global_buffer
      - .actual_access:  read_only
        .address_space:  global
        .offset:         88
        .size:           8
        .value_kind:     global_buffer
      - .actual_access:  read_only
        .address_space:  global
        .offset:         96
        .size:           8
        .value_kind:     global_buffer
      - .actual_access:  write_only
        .address_space:  global
        .offset:         104
        .size:           8
        .value_kind:     global_buffer
    .group_segment_fixed_size: 0
    .kernarg_segment_align: 8
    .kernarg_segment_size: 112
    .language:       OpenCL C
    .language_version:
      - 2
      - 0
    .max_flat_workgroup_size: 400
    .name:           fft_rtc_fwd_len125_factors_5_5_5_wgs_400_tpt_25_half_op_CI_CI_sbcc_twdbase8_3step_dirReg_intrinsicRead
    .private_segment_fixed_size: 0
    .sgpr_count:     56
    .sgpr_spill_count: 0
    .symbol:         fft_rtc_fwd_len125_factors_5_5_5_wgs_400_tpt_25_half_op_CI_CI_sbcc_twdbase8_3step_dirReg_intrinsicRead.kd
    .uniform_work_group_size: 1
    .uses_dynamic_stack: false
    .vgpr_count:     67
    .vgpr_spill_count: 0
    .wavefront_size: 32
    .workgroup_processor_mode: 1
amdhsa.target:   amdgcn-amd-amdhsa--gfx1100
amdhsa.version:
  - 1
  - 2
...

	.end_amdgpu_metadata
